;; amdgpu-corpus repo=ROCm/rocFFT kind=compiled arch=gfx950 opt=O3
	.text
	.amdgcn_target "amdgcn-amd-amdhsa--gfx950"
	.amdhsa_code_object_version 6
	.protected	fft_rtc_fwd_len56_factors_7_8_wgs_128_tpt_8_sp_op_CI_CI_sbcr_C2R ; -- Begin function fft_rtc_fwd_len56_factors_7_8_wgs_128_tpt_8_sp_op_CI_CI_sbcr_C2R
	.globl	fft_rtc_fwd_len56_factors_7_8_wgs_128_tpt_8_sp_op_CI_CI_sbcr_C2R
	.p2align	8
	.type	fft_rtc_fwd_len56_factors_7_8_wgs_128_tpt_8_sp_op_CI_CI_sbcr_C2R,@function
fft_rtc_fwd_len56_factors_7_8_wgs_128_tpt_8_sp_op_CI_CI_sbcr_C2R: ; @fft_rtc_fwd_len56_factors_7_8_wgs_128_tpt_8_sp_op_CI_CI_sbcr_C2R
; %bb.0:
	s_load_dwordx4 s[20:23], s[0:1], 0x10
	s_load_dwordx2 s[30:31], s[0:1], 0x20
	s_mov_b32 s3, 0
	s_mov_b64 s[24:25], 0
	s_waitcnt lgkmcnt(0)
	s_load_dwordx2 s[26:27], s[20:21], 0x8
	s_waitcnt lgkmcnt(0)
	s_add_u32 s4, s26, -1
	s_addc_u32 s5, s27, -1
	s_lshr_b64 s[4:5], s[4:5], 4
	s_add_u32 s6, s4, 1
	s_addc_u32 s7, s5, 0
	v_mov_b64_e32 v[2:3], s[6:7]
	v_cmp_lt_u64_e32 vcc, s[2:3], v[2:3]
	s_cbranch_vccnz .LBB0_2
; %bb.1:
	v_cvt_f32_u32_e32 v1, s6
	s_sub_i32 s4, 0, s6
	s_mov_b32 s25, s3
	v_rcp_iflag_f32_e32 v1, v1
	s_nop 0
	v_mul_f32_e32 v1, 0x4f7ffffe, v1
	v_cvt_u32_f32_e32 v1, v1
	s_nop 0
	v_readfirstlane_b32 s5, v1
	s_mul_i32 s4, s4, s5
	s_mul_hi_u32 s4, s5, s4
	s_add_i32 s5, s5, s4
	s_mul_hi_u32 s4, s2, s5
	s_mul_i32 s8, s4, s6
	s_sub_i32 s8, s2, s8
	s_add_i32 s5, s4, 1
	s_sub_i32 s9, s8, s6
	s_cmp_ge_u32 s8, s6
	s_cselect_b32 s4, s5, s4
	s_cselect_b32 s8, s9, s8
	s_add_i32 s5, s4, 1
	s_cmp_ge_u32 s8, s6
	s_cselect_b32 s24, s5, s4
.LBB0_2:
	s_mul_i32 s4, s24, s7
	s_mul_hi_u32 s5, s24, s6
	s_load_dwordx4 s[12:15], s[0:1], 0x0
	s_load_dwordx4 s[16:19], s[22:23], 0x0
	;; [unrolled: 1-line block ×3, first 2 shown]
	s_add_i32 s5, s5, s4
	s_mul_i32 s4, s24, s6
	s_sub_u32 s4, s2, s4
	s_subb_u32 s5, 0, s5
	v_mov_b32_e32 v1, s4
	s_lshl_b64 s[28:29], s[4:5], 4
	v_alignbit_b32 v1, s5, v1, 28
	s_waitcnt lgkmcnt(0)
	v_mul_lo_u32 v2, s18, v1
	s_mul_hi_u32 s4, s18, s28
	v_add_u32_e32 v2, s4, v2
	s_mul_i32 s4, s19, s28
	v_add_u32_e32 v3, s4, v2
	s_mul_i32 s4, s18, s28
	v_mov_b32_e32 v2, s4
	v_mul_lo_u32 v1, s10, v1
	s_mul_hi_u32 s4, s10, s28
	v_add_u32_e32 v1, s4, v1
	s_mul_i32 s4, s11, s28
	v_add_u32_e32 v15, s4, v1
	s_mul_i32 s4, s10, s28
	v_mov_b32_e32 v14, s4
	v_cmp_lt_u64_e64 s[4:5], s[14:15], 3
	s_and_b64 vcc, exec, s[4:5]
	s_cbranch_vccnz .LBB0_11
; %bb.3:
	s_add_u32 s34, s30, 16
	s_addc_u32 s35, s31, 0
	s_add_u32 s36, s22, 16
	s_addc_u32 s37, s23, 0
	;; [unrolled: 2-line block ×3, first 2 shown]
	s_mov_b64 s[38:39], 2
	s_mov_b32 s40, 0
	v_mov_b64_e32 v[4:5], s[14:15]
	s_branch .LBB0_5
.LBB0_4:                                ;   in Loop: Header=BB0_5 Depth=1
	s_mul_i32 s7, s42, s7
	s_mul_hi_u32 s33, s42, s6
	s_add_i32 s7, s33, s7
	s_mul_i32 s33, s43, s6
	s_add_i32 s7, s7, s33
	s_mul_i32 s33, s4, s43
	s_mul_hi_u32 s41, s4, s42
	s_load_dwordx2 s[44:45], s[36:37], 0x0
	s_add_i32 s33, s41, s33
	s_mul_i32 s41, s5, s42
	s_add_i32 s33, s33, s41
	s_mul_i32 s41, s4, s42
	s_sub_u32 s41, s24, s41
	s_subb_u32 s33, s25, s33
	s_waitcnt lgkmcnt(0)
	s_mul_i32 s24, s44, s33
	s_mul_hi_u32 s25, s44, s41
	s_mul_i32 s6, s42, s6
	s_add_i32 s42, s25, s24
	s_load_dwordx2 s[24:25], s[34:35], 0x0
	s_mul_i32 s43, s45, s41
	s_add_i32 s43, s42, s43
	s_mul_i32 s42, s44, s41
	v_lshl_add_u64 v[2:3], s[42:43], 0, v[2:3]
	s_waitcnt lgkmcnt(0)
	s_mul_i32 s33, s24, s33
	s_mul_hi_u32 s42, s24, s41
	s_add_i32 s33, s42, s33
	s_mul_i32 s25, s25, s41
	s_add_i32 s25, s33, s25
	s_add_u32 s38, s38, 1
	s_addc_u32 s39, s39, 0
	s_add_u32 s34, s34, 8
	s_addc_u32 s35, s35, 0
	s_add_u32 s36, s36, 8
	s_addc_u32 s37, s37, 0
	s_mul_i32 s24, s24, s41
	s_add_u32 s20, s20, 8
	v_cmp_ge_u64_e32 vcc, s[38:39], v[4:5]
	v_lshl_add_u64 v[14:15], s[24:25], 0, v[14:15]
	s_addc_u32 s21, s21, 0
	s_mov_b64 s[24:25], s[4:5]
	s_cbranch_vccnz .LBB0_9
.LBB0_5:                                ; =>This Inner Loop Header: Depth=1
	s_load_dwordx2 s[42:43], s[20:21], 0x0
	s_waitcnt lgkmcnt(0)
	s_or_b64 s[4:5], s[24:25], s[42:43]
	s_mov_b32 s41, s5
	s_cmp_lg_u64 s[40:41], 0
	s_cbranch_scc0 .LBB0_7
; %bb.6:                                ;   in Loop: Header=BB0_5 Depth=1
	v_cvt_f32_u32_e32 v1, s42
	v_cvt_f32_u32_e32 v6, s43
	s_sub_u32 s4, 0, s42
	s_subb_u32 s5, 0, s43
	v_fmac_f32_e32 v1, 0x4f800000, v6
	v_rcp_f32_e32 v1, v1
	s_nop 0
	v_mul_f32_e32 v1, 0x5f7ffffc, v1
	v_mul_f32_e32 v6, 0x2f800000, v1
	v_trunc_f32_e32 v6, v6
	v_fmac_f32_e32 v1, 0xcf800000, v6
	v_cvt_u32_f32_e32 v6, v6
	v_cvt_u32_f32_e32 v1, v1
	v_readfirstlane_b32 s33, v6
	v_readfirstlane_b32 s41, v1
	s_mul_i32 s44, s4, s33
	s_mul_hi_u32 s46, s4, s41
	s_mul_i32 s45, s5, s41
	s_add_i32 s44, s46, s44
	s_mul_i32 s47, s4, s41
	s_add_i32 s44, s44, s45
	s_mul_hi_u32 s45, s41, s44
	s_mul_i32 s46, s41, s44
	s_mul_hi_u32 s41, s41, s47
	s_add_u32 s41, s41, s46
	s_addc_u32 s45, 0, s45
	s_mul_hi_u32 s48, s33, s47
	s_mul_i32 s47, s33, s47
	s_add_u32 s41, s41, s47
	s_mul_hi_u32 s46, s33, s44
	s_addc_u32 s41, s45, s48
	s_addc_u32 s45, s46, 0
	s_mul_i32 s44, s33, s44
	s_add_u32 s41, s41, s44
	s_addc_u32 s44, 0, s45
	v_add_co_u32_e32 v1, vcc, s41, v1
	s_cmp_lg_u64 vcc, 0
	s_addc_u32 s33, s33, s44
	v_readfirstlane_b32 s44, v1
	s_mul_i32 s41, s4, s33
	s_mul_hi_u32 s45, s4, s44
	s_add_i32 s41, s45, s41
	s_mul_i32 s5, s5, s44
	s_add_i32 s41, s41, s5
	s_mul_i32 s4, s4, s44
	s_mul_hi_u32 s45, s33, s4
	s_mul_i32 s46, s33, s4
	s_mul_i32 s48, s44, s41
	s_mul_hi_u32 s4, s44, s4
	s_mul_hi_u32 s47, s44, s41
	s_add_u32 s4, s4, s48
	s_addc_u32 s44, 0, s47
	s_add_u32 s4, s4, s46
	s_mul_hi_u32 s5, s33, s41
	s_addc_u32 s4, s44, s45
	s_addc_u32 s5, s5, 0
	s_mul_i32 s41, s33, s41
	s_add_u32 s4, s4, s41
	s_addc_u32 s5, 0, s5
	v_add_co_u32_e32 v1, vcc, s4, v1
	s_cmp_lg_u64 vcc, 0
	s_addc_u32 s4, s33, s5
	v_readfirstlane_b32 s41, v1
	s_mul_i32 s33, s24, s4
	s_mul_hi_u32 s44, s24, s41
	s_mul_hi_u32 s5, s24, s4
	s_add_u32 s33, s44, s33
	s_addc_u32 s5, 0, s5
	s_mul_hi_u32 s45, s25, s41
	s_mul_i32 s41, s25, s41
	s_add_u32 s33, s33, s41
	s_mul_hi_u32 s44, s25, s4
	s_addc_u32 s5, s5, s45
	s_addc_u32 s33, s44, 0
	s_mul_i32 s4, s25, s4
	s_add_u32 s41, s5, s4
	s_addc_u32 s33, 0, s33
	s_mul_i32 s4, s42, s33
	s_mul_hi_u32 s5, s42, s41
	s_add_i32 s4, s5, s4
	s_mul_i32 s5, s43, s41
	s_add_i32 s44, s4, s5
	s_mul_i32 s5, s42, s41
	v_mov_b32_e32 v1, s5
	s_sub_i32 s4, s25, s44
	v_sub_co_u32_e32 v1, vcc, s24, v1
	s_cmp_lg_u64 vcc, 0
	s_subb_u32 s45, s4, s43
	v_subrev_co_u32_e64 v6, s[4:5], s42, v1
	s_cmp_lg_u64 s[4:5], 0
	s_subb_u32 s4, s45, 0
	s_cmp_ge_u32 s4, s43
	v_readfirstlane_b32 s45, v6
	s_cselect_b32 s5, -1, 0
	s_cmp_ge_u32 s45, s42
	s_cselect_b32 s45, -1, 0
	s_cmp_eq_u32 s4, s43
	s_cselect_b32 s4, s45, s5
	s_add_u32 s5, s41, 1
	s_addc_u32 s45, s33, 0
	s_add_u32 s46, s41, 2
	s_addc_u32 s47, s33, 0
	s_cmp_lg_u32 s4, 0
	s_cselect_b32 s4, s46, s5
	s_cselect_b32 s5, s47, s45
	s_cmp_lg_u64 vcc, 0
	s_subb_u32 s44, s25, s44
	s_cmp_ge_u32 s44, s43
	v_readfirstlane_b32 s46, v1
	s_cselect_b32 s45, -1, 0
	s_cmp_ge_u32 s46, s42
	s_cselect_b32 s46, -1, 0
	s_cmp_eq_u32 s44, s43
	s_cselect_b32 s44, s46, s45
	s_cmp_lg_u32 s44, 0
	s_cselect_b32 s5, s5, s33
	s_cselect_b32 s4, s4, s41
	s_cbranch_execnz .LBB0_4
	s_branch .LBB0_8
.LBB0_7:                                ;   in Loop: Header=BB0_5 Depth=1
                                        ; implicit-def: $sgpr4_sgpr5
.LBB0_8:                                ;   in Loop: Header=BB0_5 Depth=1
	v_cvt_f32_u32_e32 v1, s42
	s_sub_i32 s4, 0, s42
	v_rcp_iflag_f32_e32 v1, v1
	s_nop 0
	v_mul_f32_e32 v1, 0x4f7ffffe, v1
	v_cvt_u32_f32_e32 v1, v1
	s_nop 0
	v_readfirstlane_b32 s5, v1
	s_mul_i32 s4, s4, s5
	s_mul_hi_u32 s4, s5, s4
	s_add_i32 s5, s5, s4
	s_mul_hi_u32 s4, s24, s5
	s_mul_i32 s33, s4, s42
	s_sub_i32 s33, s24, s33
	s_add_i32 s5, s4, 1
	s_sub_i32 s41, s33, s42
	s_cmp_ge_u32 s33, s42
	s_cselect_b32 s4, s5, s4
	s_cselect_b32 s33, s41, s33
	s_add_i32 s5, s4, 1
	s_cmp_ge_u32 s33, s42
	s_cselect_b32 s4, s5, s4
	s_mov_b32 s5, s40
	s_branch .LBB0_4
.LBB0_9:
	v_mov_b64_e32 v[4:5], s[6:7]
	v_cmp_lt_u64_e32 vcc, s[2:3], v[4:5]
	s_mov_b64 s[24:25], 0
	s_cbranch_vccnz .LBB0_11
; %bb.10:
	v_cvt_f32_u32_e32 v1, s6
	s_sub_i32 s3, 0, s6
	v_rcp_iflag_f32_e32 v1, v1
	s_nop 0
	v_mul_f32_e32 v1, 0x4f7ffffe, v1
	v_cvt_u32_f32_e32 v1, v1
	s_nop 0
	v_readfirstlane_b32 s4, v1
	s_mul_i32 s3, s3, s4
	s_mul_hi_u32 s3, s4, s3
	s_add_i32 s4, s4, s3
	s_mul_hi_u32 s3, s2, s4
	s_mul_i32 s5, s3, s6
	s_sub_i32 s2, s2, s5
	s_add_i32 s4, s3, 1
	s_sub_i32 s5, s2, s6
	s_cmp_ge_u32 s2, s6
	s_cselect_b32 s3, s4, s3
	s_cselect_b32 s2, s5, s2
	s_add_i32 s4, s3, 1
	s_cmp_ge_u32 s2, s6
	s_cselect_b32 s24, s4, s3
.LBB0_11:
	s_load_dwordx4 s[4:7], s[0:1], 0x58
	s_lshl_b64 s[0:1], s[14:15], 3
	s_add_u32 s2, s22, s0
	s_addc_u32 s3, s23, s1
	s_load_dwordx2 s[2:3], s[2:3], 0x0
	v_mov_b64_e32 v[4:5], s[26:27]
	v_lshrrev_b32_e32 v8, 4, v0
	v_and_b32_e32 v1, 15, v0
	s_waitcnt lgkmcnt(0)
	s_mul_i32 s3, s3, s24
	s_mul_hi_u32 s14, s2, s24
	s_add_i32 s3, s14, s3
	s_add_u32 s0, s30, s0
	s_addc_u32 s1, s31, s1
	s_load_dwordx2 s[14:15], s[0:1], 0x0
	s_add_u32 s20, s28, 16
	s_addc_u32 s21, s29, 0
	s_mul_i32 s2, s2, s24
	v_cmp_le_u64_e64 s[0:1], s[20:21], v[4:5]
	v_lshl_add_u64 v[2:3], s[2:3], 0, v[2:3]
	s_and_b64 vcc, exec, s[0:1]
	s_cbranch_vccz .LBB0_15
; %bb.12:
	v_mad_u64_u32 v[4:5], s[2:3], s18, v1, 0
	v_mov_b32_e32 v6, v5
	v_mad_u64_u32 v[6:7], s[2:3], s19, v1, v[6:7]
	v_mad_u64_u32 v[10:11], s[2:3], s16, v8, 0
	v_mov_b32_e32 v5, v6
	v_mov_b32_e32 v6, v11
	v_mad_u64_u32 v[6:7], s[2:3], s17, v8, v[6:7]
	v_mov_b32_e32 v11, v6
	v_lshlrev_b64 v[6:7], 3, v[2:3]
	v_lshl_add_u64 v[6:7], s[4:5], 0, v[6:7]
	v_lshl_add_u64 v[6:7], v[4:5], 3, v[6:7]
	v_or_b32_e32 v9, 8, v8
	v_lshl_add_u64 v[4:5], v[10:11], 3, v[6:7]
	v_mad_u64_u32 v[10:11], s[2:3], s16, v9, 0
	v_mov_b32_e32 v12, v11
	v_mad_u64_u32 v[12:13], s[2:3], s17, v9, v[12:13]
	v_or_b32_e32 v9, 16, v8
	v_mov_b32_e32 v11, v12
	v_mad_u64_u32 v[12:13], s[2:3], s16, v9, 0
	v_mov_b32_e32 v16, v13
	v_mad_u64_u32 v[16:17], s[2:3], s17, v9, v[16:17]
	v_or_b32_e32 v9, 24, v8
	v_mov_b32_e32 v13, v16
	v_mad_u64_u32 v[16:17], s[2:3], s16, v9, 0
	v_mov_b32_e32 v18, v17
	v_mad_u64_u32 v[18:19], s[2:3], s17, v9, v[18:19]
	v_mov_b32_e32 v17, v18
	v_or_b32_e32 v9, 32, v8
	v_lshl_add_u64 v[10:11], v[10:11], 3, v[6:7]
	v_lshl_add_u64 v[12:13], v[12:13], 3, v[6:7]
	v_lshl_add_u64 v[16:17], v[16:17], 3, v[6:7]
	global_load_dwordx2 v[18:19], v[4:5], off
	global_load_dwordx2 v[20:21], v[10:11], off
	;; [unrolled: 1-line block ×4, first 2 shown]
	v_mad_u64_u32 v[4:5], s[2:3], s16, v9, 0
	v_mov_b32_e32 v10, v5
	v_mad_u64_u32 v[10:11], s[2:3], s17, v9, v[10:11]
	v_or_b32_e32 v9, 40, v8
	v_mov_b32_e32 v5, v10
	v_mad_u64_u32 v[10:11], s[2:3], s16, v9, 0
	v_mov_b32_e32 v12, v11
	v_mad_u64_u32 v[12:13], s[2:3], s17, v9, v[12:13]
	v_or_b32_e32 v9, 48, v8
	v_mov_b32_e32 v11, v12
	v_mad_u64_u32 v[12:13], s[2:3], s16, v9, 0
	v_mov_b32_e32 v16, v13
	v_mad_u64_u32 v[16:17], s[2:3], s17, v9, v[16:17]
	v_lshl_add_u64 v[4:5], v[4:5], 3, v[6:7]
	v_mov_b32_e32 v13, v16
	v_lshl_add_u64 v[10:11], v[10:11], 3, v[6:7]
	v_lshl_add_u64 v[12:13], v[12:13], 3, v[6:7]
	global_load_dwordx2 v[16:17], v[4:5], off
	global_load_dwordx2 v[26:27], v[10:11], off
	;; [unrolled: 1-line block ×3, first 2 shown]
	v_mul_u32_u24_e32 v9, 0x1c8, v1
	v_lshlrev_b32_e32 v4, 3, v8
	v_cmp_gt_u32_e32 vcc, 16, v0
	s_mov_b64 s[2:3], 0
	v_add3_u32 v4, 0, v9, v4
	s_mov_b64 s[22:23], 0
	s_waitcnt vmcnt(5)
	ds_write2_b64 v4, v[18:19], v[20:21] offset1:8
	s_waitcnt vmcnt(3)
	ds_write2_b64 v4, v[22:23], v[24:25] offset0:16 offset1:24
	s_waitcnt vmcnt(1)
	ds_write2_b64 v4, v[16:17], v[26:27] offset0:32 offset1:40
	s_waitcnt vmcnt(0)
	ds_write_b64 v4, v[28:29] offset:384
                                        ; implicit-def: $vgpr4_vgpr5
	s_and_saveexec_b64 s[30:31], vcc
; %bb.13:
	v_mov_b32_e32 v4, 0x1c0
	v_mad_u64_u32 v[4:5], s[34:35], s16, v4, v[6:7]
	s_mul_i32 s25, s17, 0x1c0
	s_mov_b64 s[22:23], exec
	v_add_u32_e32 v5, s25, v5
; %bb.14:
	s_or_b64 exec, exec, s[30:31]
	s_and_b64 vcc, exec, s[2:3]
	s_cbranch_vccnz .LBB0_16
	s_branch .LBB0_24
.LBB0_15:
	s_mov_b64 s[22:23], 0
                                        ; implicit-def: $vgpr9
                                        ; implicit-def: $vgpr4_vgpr5
	s_cbranch_execz .LBB0_24
.LBB0_16:
	v_mov_b32_e32 v5, s29
	v_or_b32_e32 v4, s28, v1
	v_cmp_gt_u64_e32 vcc, s[26:27], v[4:5]
                                        ; implicit-def: $vgpr9
                                        ; implicit-def: $vgpr4_vgpr5
	s_and_saveexec_b64 s[28:29], vcc
	s_cbranch_execz .LBB0_23
; %bb.17:
	v_mad_u64_u32 v[4:5], s[2:3], s18, v1, 0
	v_mov_b32_e32 v6, v5
	v_mad_u64_u32 v[6:7], s[2:3], s19, v1, v[6:7]
	v_mov_b32_e32 v5, v6
	;; [unrolled: 2-line block ×3, first 2 shown]
	v_lshlrev_b64 v[2:3], 3, v[2:3]
	v_mad_u64_u32 v[10:11], s[2:3], s17, v8, v[10:11]
	v_lshl_add_u64 v[2:3], s[4:5], 0, v[2:3]
	v_mov_b32_e32 v7, v10
	v_lshl_add_u64 v[2:3], v[4:5], 3, v[2:3]
	v_or_b32_e32 v9, 8, v8
	v_lshl_add_u64 v[4:5], v[6:7], 3, v[2:3]
	v_mad_u64_u32 v[6:7], s[2:3], s16, v9, 0
	v_mov_b32_e32 v10, v7
	v_mad_u64_u32 v[10:11], s[2:3], s17, v9, v[10:11]
	v_or_b32_e32 v9, 16, v8
	v_mov_b32_e32 v7, v10
	v_mad_u64_u32 v[10:11], s[2:3], s16, v9, 0
	v_mov_b32_e32 v12, v11
	v_mad_u64_u32 v[12:13], s[2:3], s17, v9, v[12:13]
	v_or_b32_e32 v9, 24, v8
	v_mov_b32_e32 v11, v12
	v_mad_u64_u32 v[12:13], s[2:3], s16, v9, 0
	v_mov_b32_e32 v16, v13
	v_mad_u64_u32 v[16:17], s[2:3], s17, v9, v[16:17]
	v_lshl_add_u64 v[6:7], v[6:7], 3, v[2:3]
	v_mov_b32_e32 v13, v16
	v_lshl_add_u64 v[10:11], v[10:11], 3, v[2:3]
	v_lshl_add_u64 v[12:13], v[12:13], 3, v[2:3]
	global_load_dwordx2 v[16:17], v[4:5], off
	global_load_dwordx2 v[18:19], v[6:7], off
	;; [unrolled: 1-line block ×4, first 2 shown]
	v_or_b32_e32 v7, 32, v8
	v_mad_u64_u32 v[4:5], s[2:3], s16, v7, 0
	v_mov_b32_e32 v6, v5
	v_mad_u64_u32 v[6:7], s[2:3], s17, v7, v[6:7]
	v_or_b32_e32 v9, 40, v8
	v_mov_b32_e32 v5, v6
	v_mad_u64_u32 v[6:7], s[2:3], s16, v9, 0
	v_mov_b32_e32 v10, v7
	v_mad_u64_u32 v[10:11], s[2:3], s17, v9, v[10:11]
	v_or_b32_e32 v9, 48, v8
	v_mov_b32_e32 v7, v10
	v_mad_u64_u32 v[10:11], s[2:3], s16, v9, 0
	v_mov_b32_e32 v12, v11
	v_mad_u64_u32 v[12:13], s[2:3], s17, v9, v[12:13]
	v_lshl_add_u64 v[4:5], v[4:5], 3, v[2:3]
	v_mov_b32_e32 v11, v12
	v_lshl_add_u64 v[6:7], v[6:7], 3, v[2:3]
	v_lshl_add_u64 v[10:11], v[10:11], 3, v[2:3]
	global_load_dwordx2 v[12:13], v[4:5], off
	global_load_dwordx2 v[24:25], v[6:7], off
	;; [unrolled: 1-line block ×3, first 2 shown]
	s_or_b64 s[4:5], s[20:21], s[26:27]
	v_mul_u32_u24_e32 v9, 0x1c8, v1
	s_mov_b32 s2, 0
	v_lshlrev_b32_e32 v1, 3, v8
	s_mov_b32 s3, s5
	v_add3_u32 v1, 0, v9, v1
	s_cmp_lg_u64 s[2:3], 0
	s_waitcnt vmcnt(5)
	ds_write2_b64 v1, v[16:17], v[18:19] offset1:8
	s_waitcnt vmcnt(3)
	ds_write2_b64 v1, v[20:21], v[22:23] offset0:16 offset1:24
	s_waitcnt vmcnt(1)
	ds_write2_b64 v1, v[12:13], v[24:25] offset0:32 offset1:40
	s_waitcnt vmcnt(0)
	ds_write_b64 v1, v[26:27] offset:384
	s_cbranch_scc0 .LBB0_43
; %bb.18:
	v_cvt_f32_u32_e32 v1, s26
	v_cvt_f32_u32_e32 v4, s27
	s_sub_u32 s2, 0, s26
	s_subb_u32 s3, 0, s27
	v_fmamk_f32 v1, v4, 0x4f800000, v1
	v_rcp_f32_e32 v1, v1
	s_nop 0
	v_mul_f32_e32 v1, 0x5f7ffffc, v1
	v_mul_f32_e32 v4, 0x2f800000, v1
	v_trunc_f32_e32 v4, v4
	v_fmamk_f32 v1, v4, 0xcf800000, v1
	v_cvt_u32_f32_e32 v4, v4
	v_cvt_u32_f32_e32 v1, v1
	v_readfirstlane_b32 s4, v4
	v_readfirstlane_b32 s5, v1
	s_mul_i32 s25, s2, s4
	s_mul_hi_u32 s31, s2, s5
	s_mul_i32 s30, s3, s5
	s_add_i32 s25, s31, s25
	s_add_i32 s25, s25, s30
	s_mul_i32 s33, s2, s5
	s_mul_hi_u32 s30, s5, s25
	s_mul_i32 s31, s5, s25
	s_mul_hi_u32 s5, s5, s33
	s_add_u32 s5, s5, s31
	s_addc_u32 s30, 0, s30
	s_mul_hi_u32 s34, s4, s33
	s_mul_i32 s33, s4, s33
	s_add_u32 s5, s5, s33
	s_mul_hi_u32 s31, s4, s25
	s_addc_u32 s5, s30, s34
	s_addc_u32 s30, s31, 0
	s_mul_i32 s25, s4, s25
	s_add_u32 s5, s5, s25
	s_addc_u32 s25, 0, s30
	v_add_co_u32_e32 v1, vcc, s5, v1
	s_cmp_lg_u64 vcc, 0
	s_addc_u32 s4, s4, s25
	v_readfirstlane_b32 s25, v1
	s_mul_i32 s5, s2, s4
	s_mul_hi_u32 s30, s2, s25
	s_add_i32 s5, s30, s5
	s_mul_i32 s3, s3, s25
	s_add_i32 s5, s5, s3
	s_mul_i32 s2, s2, s25
	s_mul_hi_u32 s30, s4, s2
	s_mul_i32 s31, s4, s2
	s_mul_i32 s34, s25, s5
	s_mul_hi_u32 s2, s25, s2
	s_mul_hi_u32 s33, s25, s5
	s_add_u32 s2, s2, s34
	s_addc_u32 s25, 0, s33
	s_add_u32 s2, s2, s31
	s_mul_hi_u32 s3, s4, s5
	s_addc_u32 s2, s25, s30
	s_addc_u32 s3, s3, 0
	s_mul_i32 s5, s4, s5
	s_add_u32 s2, s2, s5
	s_addc_u32 s3, 0, s3
	v_add_co_u32_e32 v1, vcc, s2, v1
	s_cmp_lg_u64 vcc, 0
	s_addc_u32 s2, s4, s3
	v_readfirstlane_b32 s5, v1
	s_mul_i32 s4, s20, s2
	s_mul_hi_u32 s25, s20, s5
	s_mul_hi_u32 s3, s20, s2
	s_add_u32 s4, s25, s4
	s_addc_u32 s3, 0, s3
	s_mul_hi_u32 s30, s21, s5
	s_mul_i32 s5, s21, s5
	s_add_u32 s4, s4, s5
	s_mul_hi_u32 s25, s21, s2
	s_addc_u32 s3, s3, s30
	s_addc_u32 s4, s25, 0
	s_mul_i32 s2, s21, s2
	s_add_u32 s2, s3, s2
	s_addc_u32 s3, 0, s4
	s_mul_i32 s3, s26, s3
	s_mul_hi_u32 s4, s26, s2
	s_add_i32 s3, s4, s3
	s_mul_i32 s4, s27, s2
	s_mul_i32 s2, s26, s2
	s_add_i32 s25, s3, s4
	v_mov_b32_e32 v1, s2
	s_sub_i32 s3, s21, s25
	v_sub_co_u32_e32 v1, vcc, s20, v1
	s_cmp_lg_u64 vcc, 0
	s_subb_u32 s30, s3, s27
	v_subrev_co_u32_e64 v4, s[2:3], s26, v1
	s_cmp_lg_u64 s[2:3], 0
	s_subb_u32 s31, s30, 0
	s_cmp_ge_u32 s31, s27
	s_cselect_b32 s33, -1, 0
	v_cmp_le_u32_e64 s[4:5], s26, v4
	s_cmp_eq_u32 s31, s27
	v_mov_b32_e32 v6, s33
	v_cndmask_b32_e64 v5, 0, -1, s[4:5]
	s_cselect_b64 s[4:5], -1, 0
	s_cmp_lg_u64 s[2:3], 0
	v_cndmask_b32_e64 v5, v6, v5, s[4:5]
	s_subb_u32 s4, s30, s27
	v_subrev_co_u32_e64 v6, s[2:3], s26, v4
	s_cmp_lg_u64 s[2:3], 0
	s_subb_u32 s4, s4, 0
	v_cmp_ne_u32_e64 s[2:3], 0, v5
	v_mov_b32_e32 v5, s31
	s_cmp_lg_u64 vcc, 0
	v_cndmask_b32_e64 v4, v4, v6, s[2:3]
	v_mov_b32_e32 v6, s4
	v_cndmask_b32_e64 v5, v5, v6, s[2:3]
	s_subb_u32 s2, s21, s25
	s_cmp_ge_u32 s2, s27
	s_cselect_b32 s3, -1, 0
	v_cmp_le_u32_e32 vcc, s26, v1
	s_cmp_eq_u32 s2, s27
	v_mov_b32_e32 v7, s3
	v_cndmask_b32_e64 v6, 0, -1, vcc
	s_cselect_b64 vcc, -1, 0
	v_cndmask_b32_e32 v6, v7, v6, vcc
	v_mov_b32_e32 v7, s2
	v_cmp_ne_u32_e32 vcc, 0, v6
	s_nop 1
	v_cndmask_b32_e32 v5, v7, v5, vcc
	v_cndmask_b32_e32 v4, v1, v4, vcc
	s_cbranch_execnz .LBB0_20
.LBB0_19:
	v_cvt_f32_u32_e32 v1, s26
	s_sub_i32 s2, 0, s26
	v_mov_b32_e32 v5, 0
	v_rcp_iflag_f32_e32 v1, v1
	s_nop 0
	v_mul_f32_e32 v1, 0x4f7ffffe, v1
	v_cvt_u32_f32_e32 v1, v1
	v_mul_lo_u32 v4, s2, v1
	v_mul_hi_u32 v4, v1, v4
	v_add_u32_e32 v1, v1, v4
	v_mul_hi_u32 v1, s20, v1
	v_mul_lo_u32 v1, v1, s26
	v_sub_u32_e32 v1, s20, v1
	v_subrev_u32_e32 v4, s26, v1
	v_cmp_le_u32_e32 vcc, s26, v1
	s_nop 1
	v_cndmask_b32_e32 v1, v1, v4, vcc
	v_subrev_u32_e32 v4, s26, v1
	v_cmp_le_u32_e32 vcc, s26, v1
	s_nop 1
	v_cndmask_b32_e32 v4, v1, v4, vcc
.LBB0_20:
	v_sub_co_u32_e32 v4, vcc, 16, v4
	v_mov_b32_e32 v1, 0
	s_nop 0
	v_subb_co_u32_e32 v5, vcc, 0, v5, vcc
	v_cmp_gt_u64_e32 vcc, v[4:5], v[0:1]
	s_mov_b64 s[4:5], s[22:23]
                                        ; implicit-def: $vgpr4_vgpr5
	s_and_saveexec_b64 s[2:3], vcc
; %bb.21:
	v_or_b32_e32 v1, 56, v8
	v_mad_u64_u32 v[4:5], s[4:5], s16, v1, 0
	v_mov_b32_e32 v6, v5
	v_mad_u64_u32 v[6:7], s[4:5], s17, v1, v[6:7]
	v_mov_b32_e32 v5, v6
	v_lshl_add_u64 v[4:5], v[4:5], 3, v[2:3]
	s_or_b64 s[4:5], s[22:23], exec
; %bb.22:
	s_or_b64 exec, exec, s[2:3]
	s_andn2_b64 s[2:3], s[22:23], exec
	s_and_b64 s[4:5], s[4:5], exec
	s_or_b64 s[22:23], s[2:3], s[4:5]
.LBB0_23:
	s_or_b64 exec, exec, s[28:29]
.LBB0_24:
	s_and_saveexec_b64 s[2:3], s[22:23]
	s_cbranch_execz .LBB0_26
; %bb.25:
	global_load_dwordx2 v[2:3], v[4:5], off
	v_add_u32_e32 v1, 0, v9
	s_waitcnt vmcnt(0)
	ds_write_b64 v1, v[2:3] offset:448
.LBB0_26:
	s_or_b64 exec, exec, s[2:3]
	v_lshrrev_b32_e32 v1, 3, v0
	v_mul_u32_u24_e32 v6, 57, v1
	v_and_b32_e32 v16, 7, v0
	v_lshl_add_u32 v9, v6, 3, 0
	v_lshlrev_b32_e32 v7, 3, v16
	v_add_u32_e32 v1, v9, v7
	s_waitcnt lgkmcnt(0)
	s_barrier
	v_sub_u32_e32 v8, v9, v7
	ds_read_b32 v3, v1
	ds_read_b32 v4, v8 offset:448
	v_cmp_ne_u32_e32 vcc, 0, v16
	s_waitcnt lgkmcnt(0)
	v_add_f32_e32 v2, v4, v3
	v_sub_f32_e32 v3, v3, v4
                                        ; implicit-def: $vgpr4_vgpr5
	s_and_saveexec_b64 s[2:3], vcc
	s_xor_b64 s[2:3], exec, s[2:3]
	s_cbranch_execz .LBB0_28
; %bb.27:
	global_load_dwordx2 v[10:11], v7, s[12:13] offset:392
	ds_read_b32 v9, v8 offset:452
	ds_read_b32 v19, v1 offset:4
	v_mov_b32_e32 v12, v3
	v_mov_b32_e32 v18, v2
	;; [unrolled: 1-line block ×4, first 2 shown]
	s_waitcnt lgkmcnt(0)
	v_add_f32_e32 v13, v9, v19
	v_sub_f32_e32 v19, v19, v9
	v_mov_b32_e32 v20, v13
	v_mov_b64_e32 v[4:5], v[16:17]
                                        ; implicit-def: $vgpr9
	s_waitcnt vmcnt(0)
	v_pk_mul_f32 v[22:23], v[12:13], v[10:11] op_sel:[0,1]
	v_pk_fma_f32 v[12:13], v[12:13], v[10:11], v[18:19] op_sel:[0,1,0]
	v_mov_b32_e32 v3, v23
	v_mov_b32_e32 v23, v19
	v_pk_fma_f32 v[24:25], v[10:11], v[20:21], v[12:13] neg_lo:[1,0,0] neg_hi:[1,0,0]
	v_pk_fma_f32 v[12:13], v[10:11], v[20:21], v[12:13] op_sel_hi:[0,1,1]
	v_pk_add_f32 v[2:3], v[2:3], v[22:23] neg_lo:[0,1] neg_hi:[0,1]
	v_mov_b32_e32 v25, v13
	v_pk_fma_f32 v[2:3], v[10:11], v[20:21], v[2:3] op_sel_hi:[0,1,1]
	ds_write_b64 v8, v[2:3] offset:448
	v_mov_b64_e32 v[2:3], v[24:25]
.LBB0_28:
	s_andn2_saveexec_b64 s[2:3], s[2:3]
	s_cbranch_execz .LBB0_30
; %bb.29:
	ds_read_b64 v[4:5], v9 offset:224
	s_mov_b32 s4, 2.0
	s_mov_b32 s5, -2.0
	s_waitcnt lgkmcnt(0)
	v_pk_mul_f32 v[4:5], v[4:5], s[4:5]
	ds_write_b64 v9, v[4:5] offset:224
	v_mov_b64_e32 v[4:5], 0
.LBB0_30:
	s_or_b64 exec, exec, s[2:3]
	s_add_u32 s2, s12, 0x188
	s_addc_u32 s3, s13, 0
	v_lshl_add_u64 v[4:5], v[4:5], 3, s[2:3]
	global_load_dwordx2 v[10:11], v[4:5], off offset:64
	global_load_dwordx2 v[12:13], v[4:5], off offset:128
	ds_write_b64 v1, v[2:3]
	ds_read_b64 v[2:3], v8 offset:384
	ds_read_b64 v[18:19], v1 offset:64
	v_or_b32_e32 v9, 24, v16
	v_cmp_gt_u32_e32 vcc, 28, v9
	s_waitcnt lgkmcnt(0)
	v_pk_add_f32 v[20:21], v[18:19], v[2:3]
	v_pk_add_f32 v[2:3], v[18:19], v[2:3] neg_lo:[0,1] neg_hi:[0,1]
	v_mov_b32_e32 v18, v21
	v_mov_b32_e32 v19, v2
	;; [unrolled: 1-line block ×3, first 2 shown]
	s_waitcnt vmcnt(1)
	v_pk_mul_f32 v[22:23], v[18:19], v[10:11] op_sel:[0,1]
	s_nop 0
	v_pk_add_f32 v[24:25], v[20:21], v[22:23] op_sel:[0,1] op_sel_hi:[1,0]
	v_mov_b32_e32 v21, v22
	v_mov_b32_e32 v2, v23
	v_pk_fma_f32 v[22:23], v[10:11], v[18:19], v[24:25] neg_lo:[1,0,0] neg_hi:[1,0,0]
	v_pk_fma_f32 v[24:25], v[10:11], v[18:19], v[24:25] op_sel_hi:[0,1,1]
	v_pk_add_f32 v[2:3], v[20:21], v[2:3] neg_lo:[0,1] neg_hi:[0,1]
	v_mov_b32_e32 v23, v25
	v_pk_fma_f32 v[2:3], v[10:11], v[18:19], v[2:3] op_sel_hi:[0,1,1]
	ds_write_b64 v1, v[22:23] offset:64
	ds_write_b64 v8, v[2:3] offset:384
	ds_read_b64 v[2:3], v8 offset:320
	ds_read_b64 v[10:11], v1 offset:128
	s_waitcnt lgkmcnt(0)
	v_pk_add_f32 v[18:19], v[10:11], v[2:3]
	v_pk_add_f32 v[2:3], v[10:11], v[2:3] neg_lo:[0,1] neg_hi:[0,1]
	v_mov_b32_e32 v10, v19
	v_mov_b32_e32 v11, v2
	;; [unrolled: 1-line block ×3, first 2 shown]
	s_waitcnt vmcnt(0)
	v_pk_mul_f32 v[20:21], v[10:11], v[12:13] op_sel:[0,1]
	s_nop 0
	v_pk_add_f32 v[22:23], v[18:19], v[20:21] op_sel:[0,1] op_sel_hi:[1,0]
	v_mov_b32_e32 v19, v20
	v_mov_b32_e32 v2, v21
	v_pk_fma_f32 v[20:21], v[12:13], v[10:11], v[22:23] neg_lo:[1,0,0] neg_hi:[1,0,0]
	v_pk_fma_f32 v[22:23], v[12:13], v[10:11], v[22:23] op_sel_hi:[0,1,1]
	v_pk_add_f32 v[2:3], v[18:19], v[2:3] neg_lo:[0,1] neg_hi:[0,1]
	v_mov_b32_e32 v21, v23
	v_pk_fma_f32 v[2:3], v[12:13], v[10:11], v[2:3] op_sel_hi:[0,1,1]
	ds_write_b64 v1, v[20:21] offset:128
	ds_write_b64 v8, v[2:3] offset:320
	s_and_saveexec_b64 s[2:3], vcc
	s_cbranch_execz .LBB0_32
; %bb.31:
	global_load_dwordx2 v[2:3], v[4:5], off offset:192
	ds_read_b64 v[4:5], v8 offset:256
	ds_read_b64 v[10:11], v1 offset:192
	s_waitcnt lgkmcnt(0)
	v_pk_add_f32 v[12:13], v[10:11], v[4:5]
	v_pk_add_f32 v[4:5], v[10:11], v[4:5] neg_lo:[0,1] neg_hi:[0,1]
	v_mov_b32_e32 v10, v13
	v_mov_b32_e32 v11, v4
	;; [unrolled: 1-line block ×3, first 2 shown]
	s_waitcnt vmcnt(0)
	v_pk_mul_f32 v[18:19], v[10:11], v[2:3] op_sel:[0,1]
	s_nop 0
	v_pk_add_f32 v[20:21], v[12:13], v[18:19] op_sel:[0,1] op_sel_hi:[1,0]
	v_mov_b32_e32 v13, v18
	v_mov_b32_e32 v4, v19
	v_pk_fma_f32 v[18:19], v[2:3], v[10:11], v[20:21] neg_lo:[1,0,0] neg_hi:[1,0,0]
	v_pk_fma_f32 v[20:21], v[2:3], v[10:11], v[20:21] op_sel_hi:[0,1,1]
	v_pk_add_f32 v[4:5], v[12:13], v[4:5] neg_lo:[0,1] neg_hi:[0,1]
	v_mov_b32_e32 v19, v21
	v_pk_fma_f32 v[2:3], v[2:3], v[10:11], v[4:5] op_sel_hi:[0,1,1]
	ds_write_b64 v1, v[18:19] offset:192
	ds_write_b64 v8, v[2:3] offset:256
.LBB0_32:
	s_or_b64 exec, exec, s[2:3]
	v_lshlrev_b32_e32 v2, 3, v6
	v_add3_u32 v17, 0, v7, v2
	s_waitcnt lgkmcnt(0)
	s_barrier
	s_barrier
	ds_read2_b64 v[2:5], v17 offset0:8 offset1:16
	ds_read2_b64 v[6:9], v17 offset0:40 offset1:48
	;; [unrolled: 1-line block ×3, first 2 shown]
	s_mov_b32 s4, 0x3f4a47b2
	s_mov_b32 s5, 0x3eae86e6
	s_waitcnt lgkmcnt(2)
	v_mov_b32_e32 v18, v5
	s_waitcnt lgkmcnt(1)
	v_pk_add_f32 v[20:21], v[2:3], v[8:9] neg_lo:[0,1] neg_hi:[0,1]
	v_mov_b32_e32 v19, v3
	v_mov_b32_e32 v22, v7
	;; [unrolled: 1-line block ×3, first 2 shown]
	v_pk_add_f32 v[2:3], v[2:3], v[8:9]
	v_pk_add_f32 v[8:9], v[4:5], v[6:7]
	s_waitcnt lgkmcnt(0)
	v_mov_b32_e32 v26, v12
	v_mov_b32_e32 v27, v4
	;; [unrolled: 1-line block ×4, first 2 shown]
	v_pk_add_f32 v[6:7], v[12:13], v[10:11] neg_lo:[0,1] neg_hi:[0,1]
	v_pk_add_f32 v[22:23], v[18:19], v[22:23] neg_lo:[0,1] neg_hi:[0,1]
	;; [unrolled: 1-line block ×3, first 2 shown]
	v_mov_b32_e32 v6, v7
	v_pk_add_f32 v[24:25], v[10:11], v[12:13]
	v_pk_add_f32 v[12:13], v[6:7], v[22:23]
	v_add_f32_e32 v6, v4, v5
	ds_read_b64 v[18:19], v1
	v_add_f32_e32 v6, v6, v20
	v_mov_b32_e32 v13, v12
	v_pk_add_f32 v[26:27], v[20:21], v[4:5] neg_lo:[0,1] neg_hi:[0,1]
	v_pk_add_f32 v[12:13], v[12:13], v[22:23]
	v_mul_f32_e32 v21, 0x3ee1c552, v6
	v_mov_b32_e32 v6, v24
	v_mov_b32_e32 v30, v8
	;; [unrolled: 1-line block ×4, first 2 shown]
	v_pk_add_f32 v[32:33], v[6:7], v[30:31] neg_lo:[0,1] neg_hi:[0,1]
	v_pk_add_f32 v[6:7], v[22:23], v[6:7] neg_lo:[0,1] neg_hi:[0,1]
	v_pk_add_f32 v[10:11], v[8:9], v[2:3]
	v_sub_f32_e32 v29, v3, v25
	v_pk_mul_f32 v[6:7], v[6:7], s[4:5]
	s_mov_b32 s2, s5
	v_mov_b32_e32 v8, v9
	v_mov_b32_e32 v9, v5
	;; [unrolled: 1-line block ×4, first 2 shown]
	s_mov_b32 s4, 0x3f3bfb3b
	v_pk_add_f32 v[10:11], v[24:25], v[10:11]
	s_mov_b32 s16, 0x3d64c772
	v_pk_add_f32 v[2:3], v[8:9], v[2:3] neg_lo:[0,1] neg_hi:[0,1]
	v_mov_b32_e32 v24, v25
	v_mov_b32_e32 v25, v4
	s_mov_b32 s5, 0x3f5ff5aa
	s_waitcnt lgkmcnt(0)
	v_pk_add_f32 v[18:19], v[18:19], v[10:11]
	s_mov_b32 s17, 0xbf08b237
	v_pk_add_f32 v[4:5], v[24:25], v[8:9] neg_lo:[0,1] neg_hi:[0,1]
	v_pk_mul_f32 v[2:3], v[2:3], s[4:5]
	s_mov_b32 s18, 0xbf4a47b2
	s_mov_b32 s3, 0x3f955555
	v_mov_b32_e32 v27, v11
	v_fma_f32 v9, v29, s18, -v2
	v_pk_fma_f32 v[24:25], v[4:5], s[16:17], v[2:3] neg_lo:[1,0,0] neg_hi:[1,0,0]
	v_xor_b32_e32 v2, 0x80000000, v3
	v_mov_b32_e32 v3, v19
	v_pk_fma_f32 v[2:3], v[26:27], s[2:3], v[2:3] neg_lo:[1,0,0] neg_hi:[1,0,0]
	v_mov_b32_e32 v8, v21
	v_mul_f32_e32 v10, 0x3f955555, v10
	v_mov_b32_e32 v20, v3
	v_pk_add_f32 v[2:3], v[8:9], v[2:3]
	v_mov_b32_e32 v9, 0x3ee1c552
	v_mov_b32_e32 v8, v18
	;; [unrolled: 1-line block ×3, first 2 shown]
	v_pk_mul_f32 v[36:37], v[26:27], s[2:3]
	v_pk_add_f32 v[10:11], v[18:19], v[10:11] neg_lo:[0,1] neg_hi:[0,1]
	v_pk_mul_f32 v[8:9], v[8:9], v[12:13]
	v_mul_f32_e32 v28, 0x3f4a47b2, v29
	v_mov_b32_e32 v29, v36
	v_mov_b32_e32 v11, v9
	v_pk_add_f32 v[8:9], v[30:31], v[22:23] neg_lo:[0,1] neg_hi:[0,1]
	v_pk_fma_f32 v[4:5], v[4:5], s[16:17], v[28:29]
	v_pk_mul_f32 v[8:9], v[8:9], s[4:5]
	v_pk_add_f32 v[24:25], v[24:25], v[20:21]
	v_pk_add_f32 v[4:5], v[4:5], v[20:21]
	v_pk_fma_f32 v[12:13], v[32:33], s[16:17], v[8:9] neg_lo:[1,0,0] neg_hi:[1,0,0]
	v_mov_b32_e32 v20, v6
	v_mov_b32_e32 v21, v9
	v_mov_b32_e32 v9, v7
	v_pk_fma_f32 v[34:35], v[32:33], s[16:17], v[6:7]
	v_pk_add_f32 v[6:7], v[20:21], v[8:9] neg_lo:[1,1] neg_hi:[1,1]
	v_pk_add_f32 v[26:27], v[34:35], v[10:11]
	v_pk_add_f32 v[22:23], v[6:7], v[10:11]
	;; [unrolled: 1-line block ×3, first 2 shown]
	v_mov_b32_e32 v10, v26
	v_mov_b32_e32 v11, v4
	;; [unrolled: 1-line block ×7, first 2 shown]
	v_pk_add_f32 v[6:7], v[10:11], v[12:13]
	v_pk_add_f32 v[10:11], v[10:11], v[12:13] neg_lo:[0,1] neg_hi:[0,1]
	v_pk_add_f32 v[2:3], v[30:31], v[22:23]
	v_pk_add_f32 v[12:13], v[30:31], v[22:23] neg_lo:[0,1] neg_hi:[0,1]
	v_mov_b32_e32 v28, v8
	v_mov_b32_e32 v29, v25
	;; [unrolled: 1-line block ×4, first 2 shown]
	v_pk_add_f32 v[22:23], v[22:23], v[30:31] neg_lo:[0,1] neg_hi:[0,1]
	v_mov_b32_e32 v24, v26
	v_mov_b32_e32 v25, v5
	;; [unrolled: 1-line block ×4, first 2 shown]
	v_pk_add_f32 v[20:21], v[28:29], v[32:33] neg_lo:[0,1] neg_hi:[0,1]
	v_pk_add_f32 v[8:9], v[28:29], v[32:33]
	v_pk_add_f32 v[28:29], v[32:33], v[28:29] neg_lo:[0,1] neg_hi:[0,1]
	v_pk_add_f32 v[26:27], v[24:25], v[30:31] neg_lo:[0,1] neg_hi:[0,1]
	v_pk_add_f32 v[4:5], v[24:25], v[30:31]
	v_mad_u32_u24 v34, v16, 48, v17
	v_mov_b32_e32 v7, v11
	v_mov_b32_e32 v12, v2
	;; [unrolled: 1-line block ×6, first 2 shown]
	v_cmp_eq_u32_e32 vcc, 7, v16
	v_cmp_ne_u32_e64 s[2:3], 7, v16
	s_barrier
	ds_write2_b64 v34, v[18:19], v[6:7] offset1:1
	ds_write2_b64 v34, v[12:13], v[20:21] offset0:2 offset1:3
	ds_write2_b64 v34, v[28:29], v[22:23] offset0:4 offset1:5
	ds_write_b64 v34, v[26:27] offset:48
	s_waitcnt lgkmcnt(0)
	s_barrier
	s_waitcnt lgkmcnt(0)
                                        ; implicit-def: $vgpr25
	s_and_saveexec_b64 s[4:5], s[2:3]
	s_cbranch_execz .LBB0_34
; %bb.33:
	ds_read2_b64 v[2:5], v17 offset0:35 offset1:42
	ds_read2_b64 v[10:13], v17 offset0:7 offset1:14
	ds_read2_b64 v[6:9], v17 offset0:21 offset1:28
	ds_read_b64 v[18:19], v1
	ds_read_b64 v[24:25], v17 offset:392
	s_waitcnt lgkmcnt(4)
	v_mov_b32_e32 v26, v4
	v_mov_b32_e32 v22, v2
	s_waitcnt lgkmcnt(2)
	v_mov_b32_e32 v29, v9
	v_mov_b32_e32 v9, v7
	;; [unrolled: 1-line block ×5, first 2 shown]
.LBB0_34:
	s_or_b64 exec, exec, s[4:5]
	s_waitcnt lgkmcnt(0)
	s_barrier
	s_and_saveexec_b64 s[4:5], s[2:3]
	s_cbranch_execz .LBB0_36
; %bb.35:
	v_mul_u32_u24_e32 v4, 7, v16
	v_cndmask_b32_e64 v4, v4, 0, vcc
	v_lshlrev_b32_e32 v4, 3, v4
	global_load_dwordx4 v[30:33], v4, s[12:13]
	global_load_dwordx4 v[34:37], v4, s[12:13] offset:32
	global_load_dwordx4 v[38:41], v4, s[12:13] offset:16
	global_load_dwordx2 v[42:43], v4, s[12:13] offset:48
	v_mov_b32_e32 v4, v13
	v_mov_b32_e32 v10, v5
	v_mov_b32_e32 v12, v29
	v_mov_b32_e32 v16, v11
	v_mov_b32_e32 v28, v3
	v_mov_b32_e32 v44, v9
	v_mov_b32_e32 v46, v25
	s_mov_b32 s2, 0x3f3504f3
	s_waitcnt vmcnt(3)
	v_pk_mul_f32 v[4:5], v[4:5], v[32:33] op_sel_hi:[0,1]
	s_waitcnt vmcnt(2)
	v_pk_mul_f32 v[10:11], v[10:11], v[36:37] op_sel_hi:[0,1]
	;; [unrolled: 2-line block ×3, first 2 shown]
	v_pk_mul_f32 v[48:49], v[16:17], v[30:31] op_sel_hi:[0,1]
	v_pk_mul_f32 v[28:29], v[28:29], v[34:35] op_sel_hi:[0,1]
	;; [unrolled: 1-line block ×3, first 2 shown]
	s_waitcnt vmcnt(0)
	v_pk_mul_f32 v[46:47], v[46:47], v[42:43] op_sel_hi:[0,1]
	v_pk_fma_f32 v[50:51], v[8:9], v[40:41], v[12:13] op_sel:[0,0,1] op_sel_hi:[1,1,0] neg_lo:[0,0,1] neg_hi:[0,0,1]
	v_pk_fma_f32 v[8:9], v[8:9], v[40:41], v[12:13] op_sel:[0,0,1] op_sel_hi:[0,1,0]
	v_pk_fma_f32 v[12:13], v[2:3], v[32:33], v[4:5] op_sel:[0,0,1] op_sel_hi:[1,1,0] neg_lo:[0,0,1] neg_hi:[0,0,1]
	v_pk_fma_f32 v[2:3], v[2:3], v[32:33], v[4:5] op_sel:[0,0,1] op_sel_hi:[0,1,0]
	;; [unrolled: 2-line block ×7, first 2 shown]
	v_mov_b32_e32 v51, v9
	v_mov_b32_e32 v13, v3
	;; [unrolled: 1-line block ×7, first 2 shown]
	v_pk_add_f32 v[2:3], v[18:19], v[50:51] neg_lo:[0,1] neg_hi:[0,1]
	v_pk_add_f32 v[4:5], v[12:13], v[4:5] neg_lo:[0,1] neg_hi:[0,1]
	;; [unrolled: 1-line block ×4, first 2 shown]
	v_pk_fma_f32 v[10:11], v[18:19], 2.0, v[2:3] op_sel_hi:[1,0,1] neg_lo:[0,0,1] neg_hi:[0,0,1]
	v_pk_fma_f32 v[12:13], v[12:13], 2.0, v[4:5] op_sel_hi:[1,0,1] neg_lo:[0,0,1] neg_hi:[0,0,1]
	;; [unrolled: 1-line block ×4, first 2 shown]
	v_pk_add_f32 v[22:23], v[2:3], v[4:5] op_sel:[0,1] op_sel_hi:[1,0] neg_lo:[0,1] neg_hi:[0,1]
	v_pk_add_f32 v[4:5], v[2:3], v[4:5] op_sel:[0,1] op_sel_hi:[1,0]
	v_pk_add_f32 v[24:25], v[8:9], v[6:7] op_sel:[0,1] op_sel_hi:[1,0] neg_lo:[0,1] neg_hi:[0,1]
	v_pk_add_f32 v[6:7], v[8:9], v[6:7] op_sel:[0,1] op_sel_hi:[1,0]
	v_pk_add_f32 v[12:13], v[10:11], v[12:13] neg_lo:[0,1] neg_hi:[0,1]
	v_pk_add_f32 v[20:21], v[18:19], v[20:21] neg_lo:[0,1] neg_hi:[0,1]
	v_mov_b32_e32 v23, v5
	v_mov_b32_e32 v25, v7
	v_pk_fma_f32 v[4:5], v[10:11], 2.0, v[12:13] op_sel_hi:[1,0,1] neg_lo:[0,0,1] neg_hi:[0,0,1]
	v_pk_fma_f32 v[6:7], v[18:19], 2.0, v[20:21] op_sel_hi:[1,0,1] neg_lo:[0,0,1] neg_hi:[0,0,1]
	;; [unrolled: 1-line block ×4, first 2 shown]
	v_pk_add_f32 v[10:11], v[12:13], v[20:21] op_sel:[0,1] op_sel_hi:[1,0] neg_lo:[0,1] neg_hi:[0,1]
	v_pk_add_f32 v[18:19], v[12:13], v[20:21] op_sel:[0,1] op_sel_hi:[1,0]
	v_pk_mul_f32 v[20:21], v[24:25], s[2:3] op_sel_hi:[1,0]
	v_pk_fma_f32 v[24:25], v[24:25], s[2:3], v[22:23] op_sel_hi:[1,0,1]
	v_pk_add_f32 v[6:7], v[4:5], v[6:7] neg_lo:[0,1] neg_hi:[0,1]
	v_pk_mul_f32 v[26:27], v[8:9], s[2:3] op_sel_hi:[1,0]
	v_pk_fma_f32 v[8:9], v[8:9], s[2:3], v[2:3] op_sel_hi:[1,0,1] neg_lo:[1,0,0] neg_hi:[1,0,0]
	v_mov_b32_e32 v11, v19
	v_pk_add_f32 v[18:19], v[24:25], v[20:21] op_sel:[0,1] op_sel_hi:[1,0] neg_lo:[0,1] neg_hi:[0,1]
	v_pk_add_f32 v[20:21], v[24:25], v[20:21] op_sel:[0,1] op_sel_hi:[1,0]
	v_pk_fma_f32 v[4:5], v[4:5], 2.0, v[6:7] op_sel_hi:[1,0,1] neg_lo:[0,0,1] neg_hi:[0,0,1]
	v_pk_add_f32 v[24:25], v[8:9], v[26:27] op_sel:[0,1] op_sel_hi:[1,0] neg_lo:[0,1] neg_hi:[0,1]
	v_pk_add_f32 v[8:9], v[8:9], v[26:27] op_sel:[0,1] op_sel_hi:[1,0]
	v_mov_b32_e32 v19, v21
	ds_write_b64 v1, v[4:5]
	v_mov_b32_e32 v25, v9
	v_pk_fma_f32 v[4:5], v[22:23], 2.0, v[18:19] op_sel_hi:[1,0,1] neg_lo:[0,0,1] neg_hi:[0,0,1]
	v_pk_fma_f32 v[12:13], v[12:13], 2.0, v[10:11] op_sel_hi:[1,0,1] neg_lo:[0,0,1] neg_hi:[0,0,1]
	;; [unrolled: 1-line block ×3, first 2 shown]
	ds_write2_b64 v17, v[4:5], v[6:7] offset0:21 offset1:28
	ds_write2_b64 v17, v[24:25], v[10:11] offset0:35 offset1:42
	;; [unrolled: 1-line block ×3, first 2 shown]
	ds_write_b64 v17, v[18:19] offset:392
.LBB0_36:
	s_or_b64 exec, exec, s[4:5]
	s_mul_i32 s2, s15, s24
	s_mul_hi_u32 s3, s14, s24
	s_add_i32 s3, s3, s2
	s_mul_i32 s2, s14, s24
	v_lshl_add_u64 v[2:3], s[2:3], 0, v[14:15]
	s_mov_b64 s[2:3], -1
	s_and_b64 vcc, exec, s[0:1]
	s_waitcnt lgkmcnt(0)
	s_barrier
	s_cbranch_vccz .LBB0_38
; %bb.37:
	v_mul_u32_u24_e32 v1, 0x493, v0
	v_lshrrev_b32_e32 v1, 16, v1
	v_mul_lo_u16_e32 v4, 56, v1
	v_sub_u16_e32 v10, v0, v4
	v_mad_u64_u32 v[4:5], s[0:1], s8, v10, 0
	v_mov_b32_e32 v6, v5
	v_mad_u64_u32 v[6:7], s[0:1], s9, v10, v[6:7]
	v_mov_b32_e32 v5, v6
	;; [unrolled: 2-line block ×4, first 2 shown]
	v_lshlrev_b64 v[8:9], 3, v[2:3]
	v_lshl_add_u64 v[8:9], s[6:7], 0, v[8:9]
	v_lshl_add_u64 v[4:5], v[4:5], 3, v[8:9]
	s_movk_i32 s2, 0x493
	v_lshl_add_u64 v[4:5], v[6:7], 3, v[4:5]
	v_or_b32_e32 v6, 0x80, v0
	v_mul_u32_u24_sdwa v7, v6, s2 dst_sel:DWORD dst_unused:UNUSED_PAD src0_sel:WORD_0 src1_sel:DWORD
	v_lshrrev_b32_e32 v17, 16, v7
	v_mul_lo_u16_e32 v7, 56, v17
	v_sub_u16_e32 v16, v6, v7
	s_mov_b32 s0, 0x5040100
	v_mad_legacy_u16 v6, v17, 57, v16
	v_perm_b32 v18, v0, v0, s0
	s_movk_i32 s0, 0x17f
	v_mov_b32_e32 v7, 0x1800100
	v_mad_legacy_u16 v1, v1, 57, v10
	v_lshl_add_u32 v10, v6, 3, 0
	v_or_b32_e32 v6, 0x1800100, v18
	v_bitop3_b32 v7, v18, s0, v7 bitop3:0xc8
	v_mul_u32_u24_e32 v19, 0x493, v7
	v_mul_u32_u24_sdwa v20, v6, s2 dst_sel:DWORD dst_unused:UNUSED_PAD src0_sel:WORD_1 src1_sel:DWORD
	s_mov_b32 s3, 0x7060302
	v_perm_b32 v7, v20, v19, s3
	v_pk_mul_lo_u16 v11, v7, 56 op_sel_hi:[1,0]
	v_lshl_add_u32 v1, v1, 3, 0
	v_pk_sub_i16 v21, v6, v11
	s_nop 0
	v_pk_mad_u16 v6, v7, 57, v21 op_sel_hi:[1,0,1]
	s_nop 0
	v_and_b32_e32 v7, 0xffff, v6
	v_lshl_add_u32 v12, v7, 3, 0
	v_bfe_u32 v11, v6, 16, 16
	ds_read_b64 v[6:7], v1
	v_lshl_add_u32 v1, v11, 3, 0
	ds_read_b64 v[10:11], v10
	ds_read_b64 v[12:13], v12
	;; [unrolled: 1-line block ×3, first 2 shown]
	v_lshrrev_b32_e32 v1, 16, v19
	s_waitcnt lgkmcnt(3)
	global_store_dwordx2 v[4:5], v[6:7], off
	v_mad_u64_u32 v[4:5], s[0:1], s8, v16, 0
	v_mov_b32_e32 v6, v5
	v_mad_u64_u32 v[6:7], s[0:1], s9, v16, v[6:7]
	v_mov_b32_e32 v5, v6
	;; [unrolled: 2-line block ×4, first 2 shown]
	v_lshl_add_u64 v[4:5], v[4:5], 3, v[8:9]
	v_lshl_add_u64 v[4:5], v[6:7], 3, v[4:5]
	v_and_b32_e32 v7, 0xffff, v21
	s_waitcnt lgkmcnt(2)
	global_store_dwordx2 v[4:5], v[10:11], off
	v_mad_u64_u32 v[4:5], s[0:1], s8, v7, 0
	v_mov_b32_e32 v6, v5
	v_mad_u64_u32 v[6:7], s[0:1], s9, v7, v[6:7]
	v_mov_b32_e32 v5, v6
	v_mad_u64_u32 v[6:7], s[0:1], s10, v1, 0
	v_mov_b32_e32 v10, v7
	v_mad_u64_u32 v[10:11], s[0:1], s11, v1, v[10:11]
	v_mov_b32_e32 v7, v10
	v_lshl_add_u64 v[4:5], v[4:5], 3, v[8:9]
	v_lshl_add_u64 v[4:5], v[6:7], 3, v[4:5]
	v_lshrrev_b32_e32 v1, 16, v21
	s_waitcnt lgkmcnt(1)
	global_store_dwordx2 v[4:5], v[12:13], off
	v_mad_u64_u32 v[4:5], s[0:1], s8, v1, 0
	v_mov_b32_e32 v6, v5
	v_lshrrev_b32_e32 v16, 16, v20
	v_mad_u64_u32 v[6:7], s[0:1], s9, v1, v[6:7]
	v_mov_b32_e32 v5, v6
	v_mad_u64_u32 v[6:7], s[0:1], s10, v16, 0
	v_mov_b32_e32 v10, v7
	v_mad_u64_u32 v[10:11], s[0:1], s11, v16, v[10:11]
	v_mov_b32_e32 v7, v10
	v_lshl_add_u64 v[4:5], v[4:5], 3, v[8:9]
	v_lshl_add_u64 v[4:5], v[6:7], 3, v[4:5]
	s_waitcnt lgkmcnt(0)
	global_store_dwordx2 v[4:5], v[14:15], off
	s_movk_i32 s0, 0x27f
	v_mov_b32_e32 v4, 0x2800200
	v_or_b32_e32 v1, 0x2800200, v18
	v_bitop3_b32 v4, v18, s0, v4 bitop3:0xc8
	v_mul_u32_u24_e32 v4, 0x493, v4
	v_mul_u32_u24_sdwa v5, v1, s2 dst_sel:DWORD dst_unused:UNUSED_PAD src0_sel:WORD_1 src1_sel:DWORD
	v_perm_b32 v12, v5, v4, s3
	v_lshrrev_b32_e32 v11, 16, v4
	v_pk_mul_lo_u16 v4, v12, 56 op_sel_hi:[1,0]
	v_lshrrev_b32_e32 v15, 16, v5
	v_pk_sub_i16 v1, v1, v4
	s_nop 0
	v_and_b32_e32 v7, 0xffff, v1
	v_mad_u64_u32 v[4:5], s[0:1], s8, v7, 0
	v_mov_b32_e32 v6, v5
	v_mad_u64_u32 v[6:7], s[0:1], s9, v7, v[6:7]
	v_mov_b32_e32 v5, v6
	;; [unrolled: 2-line block ×4, first 2 shown]
	v_pk_mad_u16 v10, v12, 57, v1 op_sel_hi:[1,0,1]
	v_lshl_add_u64 v[4:5], v[4:5], 3, v[8:9]
	v_lshl_add_u64 v[4:5], v[6:7], 3, v[4:5]
	v_bfe_u32 v6, v10, 16, 16
	v_and_b32_e32 v11, 0xffff, v10
	v_lshl_add_u32 v10, v6, 3, 0
	v_or_b32_e32 v6, 0x300, v0
	v_mul_u32_u24_sdwa v7, v6, s2 dst_sel:DWORD dst_unused:UNUSED_PAD src0_sel:WORD_0 src1_sel:DWORD
	v_lshrrev_b32_e32 v16, 16, v7
	v_lshl_add_u32 v11, v11, 3, 0
	v_mul_lo_u16_e32 v7, 56, v16
	v_sub_u16_e32 v17, v6, v7
	ds_read_b64 v[6:7], v11
	v_mad_legacy_u16 v11, v16, 57, v17
	v_lshl_add_u32 v12, v11, 3, 0
	v_lshrrev_b32_e32 v1, 16, v1
	ds_read_b64 v[10:11], v10
	ds_read_b64 v[12:13], v12
	s_waitcnt lgkmcnt(2)
	global_store_dwordx2 v[4:5], v[6:7], off
	v_mad_u64_u32 v[4:5], s[0:1], s8, v1, 0
	v_mov_b32_e32 v6, v5
	v_mad_u64_u32 v[6:7], s[0:1], s9, v1, v[6:7]
	v_mov_b32_e32 v5, v6
	;; [unrolled: 2-line block ×4, first 2 shown]
	v_lshl_add_u64 v[4:5], v[4:5], 3, v[8:9]
	v_lshl_add_u64 v[4:5], v[6:7], 3, v[4:5]
	s_waitcnt lgkmcnt(1)
	global_store_dwordx2 v[4:5], v[10:11], off
	v_mad_u64_u32 v[4:5], s[0:1], s8, v17, 0
	v_mov_b32_e32 v6, v5
	v_mad_u64_u32 v[6:7], s[0:1], s9, v17, v[6:7]
	v_mov_b32_e32 v5, v6
	;; [unrolled: 2-line block ×4, first 2 shown]
	v_lshl_add_u64 v[4:5], v[4:5], 3, v[8:9]
	v_lshl_add_u64 v[4:5], v[6:7], 3, v[4:5]
	s_waitcnt lgkmcnt(0)
	global_store_dwordx2 v[4:5], v[12:13], off
	s_mov_b64 s[2:3], 0
.LBB0_38:
	s_andn2_b64 vcc, exec, s[2:3]
	s_cbranch_vccnz .LBB0_42
; %bb.39:
	s_movk_i32 s0, 0x380
	v_cmp_gt_u32_e32 vcc, s0, v0
	s_and_saveexec_b64 s[0:1], vcc
	s_cbranch_execz .LBB0_42
; %bb.40:
	v_lshlrev_b64 v[2:3], 3, v[2:3]
	v_lshl_add_u64 v[2:3], s[6:7], 0, v[2:3]
	s_mov_b64 s[0:1], 0
	s_movk_i32 s2, 0x37f
.LBB0_41:                               ; =>This Inner Loop Header: Depth=1
	v_lshrrev_b16_e32 v1, 3, v0
	v_mul_u32_u24_e32 v1, 0x2493, v1
	v_lshrrev_b32_e32 v1, 16, v1
	v_mul_lo_u16_e32 v6, 56, v1
	v_mad_u64_u32 v[4:5], s[4:5], s10, v1, 0
	v_sub_u16_e32 v11, v0, v6
	v_mov_b32_e32 v6, v5
	v_mad_u64_u32 v[6:7], s[4:5], s11, v1, v[6:7]
	v_mad_legacy_u16 v1, v1, 57, v11
	v_mad_u64_u32 v[8:9], s[4:5], s8, v11, 0
	v_lshl_add_u32 v1, v1, 3, 0
	v_mov_b32_e32 v10, v9
	v_mov_b32_e32 v5, v6
	ds_read_b64 v[6:7], v1
	v_mad_u64_u32 v[10:11], s[4:5], s9, v11, v[10:11]
	v_add_u32_e32 v0, 0x80, v0
	v_mov_b32_e32 v9, v10
	v_cmp_lt_u32_e32 vcc, s2, v0
	v_lshl_add_u64 v[8:9], v[8:9], 3, v[2:3]
	s_or_b64 s[0:1], vcc, s[0:1]
	v_lshl_add_u64 v[4:5], v[4:5], 3, v[8:9]
	s_waitcnt lgkmcnt(0)
	global_store_dwordx2 v[4:5], v[6:7], off
	s_andn2_b64 exec, exec, s[0:1]
	s_cbranch_execnz .LBB0_41
.LBB0_42:
	s_endpgm
.LBB0_43:
                                        ; implicit-def: $vgpr4_vgpr5
	s_branch .LBB0_19
	.section	.rodata,"a",@progbits
	.p2align	6, 0x0
	.amdhsa_kernel fft_rtc_fwd_len56_factors_7_8_wgs_128_tpt_8_sp_op_CI_CI_sbcr_C2R
		.amdhsa_group_segment_fixed_size 0
		.amdhsa_private_segment_fixed_size 0
		.amdhsa_kernarg_size 104
		.amdhsa_user_sgpr_count 2
		.amdhsa_user_sgpr_dispatch_ptr 0
		.amdhsa_user_sgpr_queue_ptr 0
		.amdhsa_user_sgpr_kernarg_segment_ptr 1
		.amdhsa_user_sgpr_dispatch_id 0
		.amdhsa_user_sgpr_kernarg_preload_length 0
		.amdhsa_user_sgpr_kernarg_preload_offset 0
		.amdhsa_user_sgpr_private_segment_size 0
		.amdhsa_uses_dynamic_stack 0
		.amdhsa_enable_private_segment 0
		.amdhsa_system_sgpr_workgroup_id_x 1
		.amdhsa_system_sgpr_workgroup_id_y 0
		.amdhsa_system_sgpr_workgroup_id_z 0
		.amdhsa_system_sgpr_workgroup_info 0
		.amdhsa_system_vgpr_workitem_id 0
		.amdhsa_next_free_vgpr 52
		.amdhsa_next_free_sgpr 49
		.amdhsa_accum_offset 52
		.amdhsa_reserve_vcc 1
		.amdhsa_float_round_mode_32 0
		.amdhsa_float_round_mode_16_64 0
		.amdhsa_float_denorm_mode_32 3
		.amdhsa_float_denorm_mode_16_64 3
		.amdhsa_dx10_clamp 1
		.amdhsa_ieee_mode 1
		.amdhsa_fp16_overflow 0
		.amdhsa_tg_split 0
		.amdhsa_exception_fp_ieee_invalid_op 0
		.amdhsa_exception_fp_denorm_src 0
		.amdhsa_exception_fp_ieee_div_zero 0
		.amdhsa_exception_fp_ieee_overflow 0
		.amdhsa_exception_fp_ieee_underflow 0
		.amdhsa_exception_fp_ieee_inexact 0
		.amdhsa_exception_int_div_zero 0
	.end_amdhsa_kernel
	.text
.Lfunc_end0:
	.size	fft_rtc_fwd_len56_factors_7_8_wgs_128_tpt_8_sp_op_CI_CI_sbcr_C2R, .Lfunc_end0-fft_rtc_fwd_len56_factors_7_8_wgs_128_tpt_8_sp_op_CI_CI_sbcr_C2R
                                        ; -- End function
	.section	.AMDGPU.csdata,"",@progbits
; Kernel info:
; codeLenInByte = 6704
; NumSgprs: 55
; NumVgprs: 52
; NumAgprs: 0
; TotalNumVgprs: 52
; ScratchSize: 0
; MemoryBound: 0
; FloatMode: 240
; IeeeMode: 1
; LDSByteSize: 0 bytes/workgroup (compile time only)
; SGPRBlocks: 6
; VGPRBlocks: 6
; NumSGPRsForWavesPerEU: 55
; NumVGPRsForWavesPerEU: 52
; AccumOffset: 52
; Occupancy: 8
; WaveLimiterHint : 1
; COMPUTE_PGM_RSRC2:SCRATCH_EN: 0
; COMPUTE_PGM_RSRC2:USER_SGPR: 2
; COMPUTE_PGM_RSRC2:TRAP_HANDLER: 0
; COMPUTE_PGM_RSRC2:TGID_X_EN: 1
; COMPUTE_PGM_RSRC2:TGID_Y_EN: 0
; COMPUTE_PGM_RSRC2:TGID_Z_EN: 0
; COMPUTE_PGM_RSRC2:TIDIG_COMP_CNT: 0
; COMPUTE_PGM_RSRC3_GFX90A:ACCUM_OFFSET: 12
; COMPUTE_PGM_RSRC3_GFX90A:TG_SPLIT: 0
	.text
	.p2alignl 6, 3212836864
	.fill 256, 4, 3212836864
	.type	__hip_cuid_56fcdd9c3fa96c1e,@object ; @__hip_cuid_56fcdd9c3fa96c1e
	.section	.bss,"aw",@nobits
	.globl	__hip_cuid_56fcdd9c3fa96c1e
__hip_cuid_56fcdd9c3fa96c1e:
	.byte	0                               ; 0x0
	.size	__hip_cuid_56fcdd9c3fa96c1e, 1

	.ident	"AMD clang version 19.0.0git (https://github.com/RadeonOpenCompute/llvm-project roc-6.4.0 25133 c7fe45cf4b819c5991fe208aaa96edf142730f1d)"
	.section	".note.GNU-stack","",@progbits
	.addrsig
	.addrsig_sym __hip_cuid_56fcdd9c3fa96c1e
	.amdgpu_metadata
---
amdhsa.kernels:
  - .agpr_count:     0
    .args:
      - .actual_access:  read_only
        .address_space:  global
        .offset:         0
        .size:           8
        .value_kind:     global_buffer
      - .offset:         8
        .size:           8
        .value_kind:     by_value
      - .actual_access:  read_only
        .address_space:  global
        .offset:         16
        .size:           8
        .value_kind:     global_buffer
      - .actual_access:  read_only
        .address_space:  global
        .offset:         24
        .size:           8
        .value_kind:     global_buffer
      - .actual_access:  read_only
        .address_space:  global
        .offset:         32
        .size:           8
        .value_kind:     global_buffer
      - .offset:         40
        .size:           8
        .value_kind:     by_value
      - .actual_access:  read_only
        .address_space:  global
        .offset:         48
        .size:           8
        .value_kind:     global_buffer
      - .actual_access:  read_only
        .address_space:  global
        .offset:         56
        .size:           8
        .value_kind:     global_buffer
      - .offset:         64
        .size:           4
        .value_kind:     by_value
      - .actual_access:  read_only
        .address_space:  global
        .offset:         72
        .size:           8
        .value_kind:     global_buffer
      - .actual_access:  read_only
        .address_space:  global
        .offset:         80
        .size:           8
        .value_kind:     global_buffer
      - .actual_access:  read_only
        .address_space:  global
        .offset:         88
        .size:           8
        .value_kind:     global_buffer
      - .actual_access:  write_only
        .address_space:  global
        .offset:         96
        .size:           8
        .value_kind:     global_buffer
    .group_segment_fixed_size: 0
    .kernarg_segment_align: 8
    .kernarg_segment_size: 104
    .language:       OpenCL C
    .language_version:
      - 2
      - 0
    .max_flat_workgroup_size: 128
    .name:           fft_rtc_fwd_len56_factors_7_8_wgs_128_tpt_8_sp_op_CI_CI_sbcr_C2R
    .private_segment_fixed_size: 0
    .sgpr_count:     55
    .sgpr_spill_count: 0
    .symbol:         fft_rtc_fwd_len56_factors_7_8_wgs_128_tpt_8_sp_op_CI_CI_sbcr_C2R.kd
    .uniform_work_group_size: 1
    .uses_dynamic_stack: false
    .vgpr_count:     52
    .vgpr_spill_count: 0
    .wavefront_size: 64
amdhsa.target:   amdgcn-amd-amdhsa--gfx950
amdhsa.version:
  - 1
  - 2
...

	.end_amdgpu_metadata
